;; amdgpu-corpus repo=ROCm/rocFFT kind=compiled arch=gfx906 opt=O3
	.text
	.amdgcn_target "amdgcn-amd-amdhsa--gfx906"
	.amdhsa_code_object_version 6
	.protected	fft_rtc_fwd_len1666_factors_17_2_7_7_wgs_119_tpt_119_halfLds_sp_op_CI_CI_unitstride_sbrr_dirReg ; -- Begin function fft_rtc_fwd_len1666_factors_17_2_7_7_wgs_119_tpt_119_halfLds_sp_op_CI_CI_unitstride_sbrr_dirReg
	.globl	fft_rtc_fwd_len1666_factors_17_2_7_7_wgs_119_tpt_119_halfLds_sp_op_CI_CI_unitstride_sbrr_dirReg
	.p2align	8
	.type	fft_rtc_fwd_len1666_factors_17_2_7_7_wgs_119_tpt_119_halfLds_sp_op_CI_CI_unitstride_sbrr_dirReg,@function
fft_rtc_fwd_len1666_factors_17_2_7_7_wgs_119_tpt_119_halfLds_sp_op_CI_CI_unitstride_sbrr_dirReg: ; @fft_rtc_fwd_len1666_factors_17_2_7_7_wgs_119_tpt_119_halfLds_sp_op_CI_CI_unitstride_sbrr_dirReg
; %bb.0:
	s_load_dwordx4 s[8:11], s[4:5], 0x58
	s_load_dwordx4 s[12:15], s[4:5], 0x0
	;; [unrolled: 1-line block ×3, first 2 shown]
	v_mul_u32_u24_e32 v1, 0x227, v0
	v_mov_b32_e32 v3, 0
	v_mov_b32_e32 v41, 0
	s_waitcnt lgkmcnt(0)
	v_cmp_lt_u64_e64 s[0:1], s[14:15], 2
	v_add_u32_sdwa v7, s6, v1 dst_sel:DWORD dst_unused:UNUSED_PAD src0_sel:DWORD src1_sel:WORD_1
	v_mov_b32_e32 v8, v3
	s_and_b64 vcc, exec, s[0:1]
	v_mov_b32_e32 v42, 0
	s_cbranch_vccnz .LBB0_8
; %bb.1:
	s_load_dwordx2 s[0:1], s[4:5], 0x10
	s_add_u32 s2, s18, 8
	s_addc_u32 s3, s19, 0
	s_add_u32 s6, s16, 8
	s_addc_u32 s7, s17, 0
	v_mov_b32_e32 v41, 0
	s_waitcnt lgkmcnt(0)
	s_add_u32 s20, s0, 8
	v_mov_b32_e32 v42, 0
	v_mov_b32_e32 v1, v41
	s_addc_u32 s21, s1, 0
	s_mov_b64 s[22:23], 1
	v_mov_b32_e32 v2, v42
.LBB0_2:                                ; =>This Inner Loop Header: Depth=1
	s_load_dwordx2 s[24:25], s[20:21], 0x0
                                        ; implicit-def: $vgpr5_vgpr6
	s_waitcnt lgkmcnt(0)
	v_or_b32_e32 v4, s25, v8
	v_cmp_ne_u64_e32 vcc, 0, v[3:4]
	s_and_saveexec_b64 s[0:1], vcc
	s_xor_b64 s[26:27], exec, s[0:1]
	s_cbranch_execz .LBB0_4
; %bb.3:                                ;   in Loop: Header=BB0_2 Depth=1
	v_cvt_f32_u32_e32 v4, s24
	v_cvt_f32_u32_e32 v5, s25
	s_sub_u32 s0, 0, s24
	s_subb_u32 s1, 0, s25
	v_mac_f32_e32 v4, 0x4f800000, v5
	v_rcp_f32_e32 v4, v4
	v_mul_f32_e32 v4, 0x5f7ffffc, v4
	v_mul_f32_e32 v5, 0x2f800000, v4
	v_trunc_f32_e32 v5, v5
	v_mac_f32_e32 v4, 0xcf800000, v5
	v_cvt_u32_f32_e32 v5, v5
	v_cvt_u32_f32_e32 v4, v4
	v_mul_lo_u32 v6, s0, v5
	v_mul_hi_u32 v9, s0, v4
	v_mul_lo_u32 v11, s1, v4
	v_mul_lo_u32 v10, s0, v4
	v_add_u32_e32 v6, v9, v6
	v_add_u32_e32 v6, v6, v11
	v_mul_hi_u32 v9, v4, v10
	v_mul_lo_u32 v11, v4, v6
	v_mul_hi_u32 v13, v4, v6
	v_mul_hi_u32 v12, v5, v10
	v_mul_lo_u32 v10, v5, v10
	v_mul_hi_u32 v14, v5, v6
	v_add_co_u32_e32 v9, vcc, v9, v11
	v_addc_co_u32_e32 v11, vcc, 0, v13, vcc
	v_mul_lo_u32 v6, v5, v6
	v_add_co_u32_e32 v9, vcc, v9, v10
	v_addc_co_u32_e32 v9, vcc, v11, v12, vcc
	v_addc_co_u32_e32 v10, vcc, 0, v14, vcc
	v_add_co_u32_e32 v6, vcc, v9, v6
	v_addc_co_u32_e32 v9, vcc, 0, v10, vcc
	v_add_co_u32_e32 v4, vcc, v4, v6
	v_addc_co_u32_e32 v5, vcc, v5, v9, vcc
	v_mul_lo_u32 v6, s0, v5
	v_mul_hi_u32 v9, s0, v4
	v_mul_lo_u32 v10, s1, v4
	v_mul_lo_u32 v11, s0, v4
	v_add_u32_e32 v6, v9, v6
	v_add_u32_e32 v6, v6, v10
	v_mul_lo_u32 v12, v4, v6
	v_mul_hi_u32 v13, v4, v11
	v_mul_hi_u32 v14, v4, v6
	v_mul_hi_u32 v10, v5, v11
	v_mul_lo_u32 v11, v5, v11
	v_mul_hi_u32 v9, v5, v6
	v_add_co_u32_e32 v12, vcc, v13, v12
	v_addc_co_u32_e32 v13, vcc, 0, v14, vcc
	v_mul_lo_u32 v6, v5, v6
	v_add_co_u32_e32 v11, vcc, v12, v11
	v_addc_co_u32_e32 v10, vcc, v13, v10, vcc
	v_addc_co_u32_e32 v9, vcc, 0, v9, vcc
	v_add_co_u32_e32 v6, vcc, v10, v6
	v_addc_co_u32_e32 v9, vcc, 0, v9, vcc
	v_add_co_u32_e32 v6, vcc, v4, v6
	v_addc_co_u32_e32 v9, vcc, v5, v9, vcc
	v_mad_u64_u32 v[4:5], s[0:1], v7, v9, 0
	v_mul_hi_u32 v10, v7, v6
	v_add_co_u32_e32 v11, vcc, v10, v4
	v_addc_co_u32_e32 v12, vcc, 0, v5, vcc
	v_mad_u64_u32 v[4:5], s[0:1], v8, v6, 0
	v_mad_u64_u32 v[9:10], s[0:1], v8, v9, 0
	v_add_co_u32_e32 v4, vcc, v11, v4
	v_addc_co_u32_e32 v4, vcc, v12, v5, vcc
	v_addc_co_u32_e32 v5, vcc, 0, v10, vcc
	v_add_co_u32_e32 v9, vcc, v4, v9
	v_addc_co_u32_e32 v6, vcc, 0, v5, vcc
	v_mul_lo_u32 v10, s25, v9
	v_mul_lo_u32 v11, s24, v6
	v_mad_u64_u32 v[4:5], s[0:1], s24, v9, 0
	v_add3_u32 v5, v5, v11, v10
	v_sub_u32_e32 v10, v8, v5
	v_mov_b32_e32 v11, s25
	v_sub_co_u32_e32 v4, vcc, v7, v4
	v_subb_co_u32_e64 v10, s[0:1], v10, v11, vcc
	v_subrev_co_u32_e64 v11, s[0:1], s24, v4
	v_subbrev_co_u32_e64 v10, s[0:1], 0, v10, s[0:1]
	v_cmp_le_u32_e64 s[0:1], s25, v10
	v_cndmask_b32_e64 v12, 0, -1, s[0:1]
	v_cmp_le_u32_e64 s[0:1], s24, v11
	v_cndmask_b32_e64 v11, 0, -1, s[0:1]
	v_cmp_eq_u32_e64 s[0:1], s25, v10
	v_cndmask_b32_e64 v10, v12, v11, s[0:1]
	v_add_co_u32_e64 v11, s[0:1], 2, v9
	v_addc_co_u32_e64 v12, s[0:1], 0, v6, s[0:1]
	v_add_co_u32_e64 v13, s[0:1], 1, v9
	v_addc_co_u32_e64 v14, s[0:1], 0, v6, s[0:1]
	v_subb_co_u32_e32 v5, vcc, v8, v5, vcc
	v_cmp_ne_u32_e64 s[0:1], 0, v10
	v_cmp_le_u32_e32 vcc, s25, v5
	v_cndmask_b32_e64 v10, v14, v12, s[0:1]
	v_cndmask_b32_e64 v12, 0, -1, vcc
	v_cmp_le_u32_e32 vcc, s24, v4
	v_cndmask_b32_e64 v4, 0, -1, vcc
	v_cmp_eq_u32_e32 vcc, s25, v5
	v_cndmask_b32_e32 v4, v12, v4, vcc
	v_cmp_ne_u32_e32 vcc, 0, v4
	v_cndmask_b32_e64 v4, v13, v11, s[0:1]
	v_cndmask_b32_e32 v6, v6, v10, vcc
	v_cndmask_b32_e32 v5, v9, v4, vcc
.LBB0_4:                                ;   in Loop: Header=BB0_2 Depth=1
	s_andn2_saveexec_b64 s[0:1], s[26:27]
	s_cbranch_execz .LBB0_6
; %bb.5:                                ;   in Loop: Header=BB0_2 Depth=1
	v_cvt_f32_u32_e32 v4, s24
	s_sub_i32 s26, 0, s24
	v_rcp_iflag_f32_e32 v4, v4
	v_mul_f32_e32 v4, 0x4f7ffffe, v4
	v_cvt_u32_f32_e32 v4, v4
	v_mul_lo_u32 v5, s26, v4
	v_mul_hi_u32 v5, v4, v5
	v_add_u32_e32 v4, v4, v5
	v_mul_hi_u32 v4, v7, v4
	v_mul_lo_u32 v5, v4, s24
	v_add_u32_e32 v6, 1, v4
	v_sub_u32_e32 v5, v7, v5
	v_subrev_u32_e32 v9, s24, v5
	v_cmp_le_u32_e32 vcc, s24, v5
	v_cndmask_b32_e32 v5, v5, v9, vcc
	v_cndmask_b32_e32 v4, v4, v6, vcc
	v_add_u32_e32 v6, 1, v4
	v_cmp_le_u32_e32 vcc, s24, v5
	v_cndmask_b32_e32 v5, v4, v6, vcc
	v_mov_b32_e32 v6, v3
.LBB0_6:                                ;   in Loop: Header=BB0_2 Depth=1
	s_or_b64 exec, exec, s[0:1]
	v_mul_lo_u32 v4, v6, s24
	v_mul_lo_u32 v11, v5, s25
	v_mad_u64_u32 v[9:10], s[0:1], v5, s24, 0
	s_load_dwordx2 s[0:1], s[6:7], 0x0
	s_load_dwordx2 s[24:25], s[2:3], 0x0
	v_add3_u32 v4, v10, v11, v4
	v_sub_co_u32_e32 v7, vcc, v7, v9
	v_subb_co_u32_e32 v4, vcc, v8, v4, vcc
	s_waitcnt lgkmcnt(0)
	v_mul_lo_u32 v8, s0, v4
	v_mul_lo_u32 v9, s1, v7
	v_mad_u64_u32 v[41:42], s[0:1], s0, v7, v[41:42]
	s_add_u32 s22, s22, 1
	s_addc_u32 s23, s23, 0
	s_add_u32 s2, s2, 8
	v_mul_lo_u32 v4, s24, v4
	v_mul_lo_u32 v10, s25, v7
	v_mad_u64_u32 v[1:2], s[0:1], s24, v7, v[1:2]
	v_add3_u32 v42, v9, v42, v8
	s_addc_u32 s3, s3, 0
	v_mov_b32_e32 v7, s14
	s_add_u32 s6, s6, 8
	v_mov_b32_e32 v8, s15
	s_addc_u32 s7, s7, 0
	v_cmp_ge_u64_e32 vcc, s[22:23], v[7:8]
	s_add_u32 s20, s20, 8
	v_add3_u32 v2, v10, v2, v4
	s_addc_u32 s21, s21, 0
	s_cbranch_vccnz .LBB0_9
; %bb.7:                                ;   in Loop: Header=BB0_2 Depth=1
	v_mov_b32_e32 v8, v6
	v_mov_b32_e32 v7, v5
	s_branch .LBB0_2
.LBB0_8:
	v_mov_b32_e32 v1, v41
	v_mov_b32_e32 v5, v7
	;; [unrolled: 1-line block ×4, first 2 shown]
.LBB0_9:
	s_mov_b32 s2, 0x226b903
	s_load_dwordx2 s[0:1], s[4:5], 0x28
	v_mul_hi_u32 v3, v0, s2
	s_lshl_b64 s[14:15], s[14:15], 3
	s_movk_i32 s2, 0x62
	s_add_u32 s4, s18, s14
	v_mul_u32_u24_e32 v3, 0x77, v3
	s_waitcnt lgkmcnt(0)
	v_cmp_gt_u64_e64 s[0:1], s[0:1], v[5:6]
	v_sub_u32_e32 v3, v0, v3
	v_cmp_gt_u32_e64 s[2:3], s2, v3
	s_addc_u32 s5, s19, s15
	s_and_b64 s[18:19], s[0:1], s[2:3]
	v_mov_b32_e32 v30, 0
	v_mov_b32_e32 v29, 0
                                        ; implicit-def: $vgpr36
                                        ; implicit-def: $vgpr32
                                        ; implicit-def: $vgpr26
                                        ; implicit-def: $vgpr22
                                        ; implicit-def: $vgpr18
                                        ; implicit-def: $vgpr16
                                        ; implicit-def: $vgpr12
                                        ; implicit-def: $vgpr8
                                        ; implicit-def: $vgpr10
                                        ; implicit-def: $vgpr14
                                        ; implicit-def: $vgpr20
                                        ; implicit-def: $vgpr24
                                        ; implicit-def: $vgpr40
                                        ; implicit-def: $vgpr38
                                        ; implicit-def: $vgpr34
                                        ; implicit-def: $vgpr28
	s_and_saveexec_b64 s[6:7], s[18:19]
	s_cbranch_execz .LBB0_11
; %bb.10:
	s_add_u32 s14, s16, s14
	s_addc_u32 s15, s17, s15
	s_load_dwordx2 s[14:15], s[14:15], 0x0
	v_mov_b32_e32 v10, s9
	v_mov_b32_e32 v4, 0
	s_waitcnt lgkmcnt(0)
	v_mul_lo_u32 v0, s15, v5
	v_mul_lo_u32 v9, s14, v6
	v_mad_u64_u32 v[7:8], s[14:15], s14, v5, 0
	v_add3_u32 v8, v8, v9, v0
	v_lshlrev_b64 v[7:8], 3, v[7:8]
	v_add_co_u32_e32 v0, vcc, s8, v7
	v_addc_co_u32_e32 v9, vcc, v10, v8, vcc
	v_lshlrev_b64 v[7:8], 3, v[41:42]
	s_movk_i32 s8, 0x1000
	v_add_co_u32_e32 v0, vcc, v0, v7
	v_addc_co_u32_e32 v9, vcc, v9, v8, vcc
	v_lshlrev_b64 v[7:8], 3, v[3:4]
	v_add_co_u32_e32 v7, vcc, v0, v7
	v_addc_co_u32_e32 v8, vcc, v9, v8, vcc
	v_add_co_u32_e32 v41, vcc, s8, v7
	v_addc_co_u32_e32 v42, vcc, 0, v8, vcc
	s_movk_i32 s8, 0x2000
	v_add_co_u32_e32 v43, vcc, s8, v7
	v_addc_co_u32_e32 v44, vcc, 0, v8, vcc
	v_add_co_u32_e32 v45, vcc, 0x3000, v7
	global_load_dwordx2 v[29:30], v[7:8], off
	global_load_dwordx2 v[35:36], v[7:8], off offset:784
	global_load_dwordx2 v[31:32], v[7:8], off offset:1568
	;; [unrolled: 1-line block ×7, first 2 shown]
	v_addc_co_u32_e32 v46, vcc, 0, v8, vcc
	global_load_dwordx2 v[7:8], v[41:42], off offset:2176
	global_load_dwordx2 v[9:10], v[41:42], off offset:2960
	global_load_dwordx2 v[13:14], v[41:42], off offset:3744
	global_load_dwordx2 v[19:20], v[43:44], off offset:432
	global_load_dwordx2 v[23:24], v[43:44], off offset:1216
	global_load_dwordx2 v[27:28], v[43:44], off offset:2000
	global_load_dwordx2 v[33:34], v[43:44], off offset:2784
	global_load_dwordx2 v[37:38], v[43:44], off offset:3568
	global_load_dwordx2 v[39:40], v[45:46], off offset:256
.LBB0_11:
	s_or_b64 exec, exec, s[6:7]
	s_and_saveexec_b64 s[6:7], s[2:3]
	s_cbranch_execz .LBB0_13
; %bb.12:
	s_waitcnt vmcnt(0)
	v_sub_f32_e32 v61, v36, v40
	v_mul_f32_e32 v0, 0xbe3c28d5, v61
	v_sub_f32_e32 v62, v32, v38
	v_add_f32_e32 v53, v35, v39
	v_mov_b32_e32 v4, v0
	v_mul_f32_e32 v41, 0x3eb8f4ab, v62
	v_fmac_f32_e32 v4, 0xbf7ba420, v53
	v_add_f32_e32 v54, v31, v37
	v_mov_b32_e32 v42, v41
	v_sub_f32_e32 v63, v26, v34
	v_add_f32_e32 v4, v29, v4
	v_fmac_f32_e32 v42, 0x3f6eb680, v54
	v_mul_f32_e32 v43, 0xbf06c442, v63
	v_add_f32_e32 v4, v4, v42
	v_add_f32_e32 v55, v25, v33
	v_mov_b32_e32 v42, v43
	v_sub_f32_e32 v64, v22, v28
	v_fmac_f32_e32 v42, 0xbf59a7d5, v55
	v_mul_f32_e32 v44, 0x3f2c7751, v64
	v_add_f32_e32 v4, v4, v42
	v_add_f32_e32 v56, v21, v27
	v_mov_b32_e32 v42, v44
	v_sub_f32_e32 v65, v18, v24
	;; [unrolled: 6-line block ×5, first 2 shown]
	v_fmac_f32_e32 v42, 0xbe8c1d8e, v59
	v_mul_f32_e32 v48, 0x3f7ee86f, v68
	s_mov_b32 s8, 0xbf7ba420
	v_add_f32_e32 v4, v42, v4
	v_add_f32_e32 v60, v7, v9
	v_mov_b32_e32 v42, v48
	s_mov_b32 s14, 0x3f6eb680
	v_fmac_f32_e32 v42, 0x3dbcf732, v60
	v_fma_f32 v0, v53, s8, -v0
	s_mov_b32 s9, 0xbf59a7d5
	v_add_f32_e32 v42, v42, v4
	v_add_f32_e32 v0, v29, v0
	v_fma_f32 v4, v54, s14, -v41
	s_mov_b32 s16, 0x3f3d2fb0
	v_add_f32_e32 v0, v0, v4
	v_fma_f32 v4, v55, s9, -v43
	s_mov_b32 s15, 0xbf1a4643
	;; [unrolled: 3-line block ×5, first 2 shown]
	v_add_f32_e32 v0, v4, v0
	v_fma_f32 v4, v59, s18, -v47
	v_add_f32_e32 v0, v4, v0
	v_fma_f32 v4, v60, s19, -v48
	v_add_f32_e32 v43, v4, v0
	v_mul_f32_e32 v4, 0xbf06c442, v61
	v_mov_b32_e32 v0, v4
	v_mul_f32_e32 v41, 0x3f65296c, v62
	v_fmac_f32_e32 v0, 0xbf59a7d5, v53
	v_mov_b32_e32 v44, v41
	v_add_f32_e32 v0, v29, v0
	v_fmac_f32_e32 v44, 0x3ee437d1, v54
	v_add_f32_e32 v0, v0, v44
	v_mul_f32_e32 v44, 0xbf7ee86f, v63
	v_mov_b32_e32 v45, v44
	v_fmac_f32_e32 v45, 0x3dbcf732, v55
	v_add_f32_e32 v0, v0, v45
	v_mul_f32_e32 v45, 0x3f4c4adb, v64
	v_mov_b32_e32 v46, v45
	;; [unrolled: 4-line block ×3, first 2 shown]
	v_fmac_f32_e32 v47, 0x3f6eb680, v58
	v_add_f32_e32 v0, v47, v0
	v_mul_f32_e32 v47, 0xbe3c28d5, v66
	v_fma_f32 v4, v53, s9, -v4
	v_mov_b32_e32 v48, v47
	v_add_f32_e32 v4, v29, v4
	v_fma_f32 v41, v54, s17, -v41
	v_fmac_f32_e32 v48, 0xbf7ba420, v57
	v_add_f32_e32 v4, v4, v41
	v_fma_f32 v41, v55, s19, -v44
	v_add_f32_e32 v0, v48, v0
	v_mul_f32_e32 v48, 0x3f2c7751, v67
	v_add_f32_e32 v4, v4, v41
	v_fma_f32 v41, v56, s15, -v45
	v_mov_b32_e32 v49, v48
	v_add_f32_e32 v4, v4, v41
	v_fma_f32 v41, v58, s14, -v46
	v_fmac_f32_e32 v49, 0x3f3d2fb0, v59
	v_add_f32_e32 v4, v41, v4
	v_fma_f32 v41, v57, s8, -v47
	v_add_f32_e32 v0, v49, v0
	v_mul_f32_e32 v49, 0xbf763a35, v68
	v_add_f32_e32 v4, v41, v4
	v_fma_f32 v41, v59, s16, -v48
	v_add_f32_e32 v4, v41, v4
	v_fma_f32 v41, v60, s18, -v49
	v_add_f32_e32 v46, v41, v4
	v_mul_f32_e32 v41, 0xbf4c4adb, v61
	v_mov_b32_e32 v4, v41
	v_mul_f32_e32 v44, 0x3f763a35, v62
	v_fmac_f32_e32 v4, 0xbf1a4643, v53
	v_mov_b32_e32 v45, v44
	v_add_f32_e32 v4, v29, v4
	v_fmac_f32_e32 v45, 0xbe8c1d8e, v54
	v_add_f32_e32 v4, v4, v45
	v_mul_f32_e32 v45, 0xbeb8f4ab, v63
	v_mov_b32_e32 v47, v45
	v_fmac_f32_e32 v47, 0x3f6eb680, v55
	v_add_f32_e32 v4, v4, v47
	v_mul_f32_e32 v47, 0xbf06c442, v64
	v_mov_b32_e32 v48, v47
	v_fmac_f32_e32 v48, 0xbf59a7d5, v56
	v_add_f32_e32 v4, v4, v48
	v_mul_f32_e32 v48, 0x3f7ee86f, v65
	v_mov_b32_e32 v50, v49
	v_mov_b32_e32 v49, v48
	v_fmac_f32_e32 v49, 0x3dbcf732, v58
	v_fmac_f32_e32 v50, 0xbe8c1d8e, v60
	v_add_f32_e32 v4, v49, v4
	v_mul_f32_e32 v49, 0xbf2c7751, v66
	v_fma_f32 v41, v53, s15, -v41
	v_add_f32_e32 v0, v50, v0
	v_mov_b32_e32 v50, v49
	v_add_f32_e32 v41, v29, v41
	v_fma_f32 v44, v54, s18, -v44
	v_fmac_f32_e32 v50, 0x3f3d2fb0, v57
	v_add_f32_e32 v41, v41, v44
	v_fma_f32 v44, v55, s14, -v45
	v_add_f32_e32 v4, v50, v4
	v_mul_f32_e32 v50, 0xbe3c28d5, v67
	v_add_f32_e32 v41, v41, v44
	v_fma_f32 v44, v56, s9, -v47
	v_mov_b32_e32 v51, v50
	v_add_f32_e32 v41, v41, v44
	v_fma_f32 v44, v58, s19, -v48
	v_fmac_f32_e32 v51, 0xbf7ba420, v59
	v_add_f32_e32 v41, v44, v41
	v_fma_f32 v44, v57, s16, -v49
	v_add_f32_e32 v4, v51, v4
	v_mul_f32_e32 v51, 0x3f65296c, v68
	v_add_f32_e32 v41, v44, v41
	v_fma_f32 v44, v59, s8, -v50
	v_add_f32_e32 v41, v44, v41
	v_fma_f32 v44, v60, s17, -v51
	v_add_f32_e32 v48, v44, v41
	v_mul_f32_e32 v44, 0xbf763a35, v61
	v_mov_b32_e32 v41, v44
	v_mul_f32_e32 v45, 0x3f06c442, v62
	v_fmac_f32_e32 v41, 0xbe8c1d8e, v53
	v_mov_b32_e32 v47, v45
	v_add_f32_e32 v41, v29, v41
	v_fmac_f32_e32 v47, 0xbf59a7d5, v54
	v_add_f32_e32 v41, v41, v47
	v_mul_f32_e32 v47, 0x3f2c7751, v63
	v_mov_b32_e32 v49, v47
	v_fmac_f32_e32 v49, 0x3f3d2fb0, v55
	v_add_f32_e32 v41, v41, v49
	v_mul_f32_e32 v49, 0xbf65296c, v64
	v_mov_b32_e32 v50, v49
	v_fmac_f32_e32 v50, 0x3ee437d1, v56
	v_add_f32_e32 v41, v41, v50
	v_mul_f32_e32 v50, 0xbe3c28d5, v65
	v_mov_b32_e32 v52, v51
	v_mov_b32_e32 v51, v50
	v_fmac_f32_e32 v51, 0xbf7ba420, v58
	v_fmac_f32_e32 v52, 0x3ee437d1, v60
	v_add_f32_e32 v41, v51, v41
	v_mul_f32_e32 v51, 0x3f7ee86f, v66
	v_fma_f32 v44, v53, s18, -v44
	v_add_f32_e32 v4, v52, v4
	;; [unrolled: 48-line block ×4, first 2 shown]
	v_mov_b32_e32 v72, v71
	v_add_f32_e32 v47, v29, v47
	v_fma_f32 v51, v54, s15, -v51
	v_fmac_f32_e32 v72, 0x3f6eb680, v57
	v_add_f32_e32 v47, v47, v51
	v_fma_f32 v51, v55, s8, -v52
	v_add_f32_e32 v45, v72, v45
	v_mul_f32_e32 v72, 0xbf7ee86f, v67
	v_add_f32_e32 v47, v47, v51
	v_fma_f32 v51, v56, s18, -v69
	v_mov_b32_e32 v73, v72
	v_add_f32_e32 v47, v47, v51
	v_fma_f32 v51, v58, s16, -v70
	v_fmac_f32_e32 v73, 0x3dbcf732, v59
	v_add_f32_e32 v47, v51, v47
	v_fma_f32 v51, v57, s14, -v71
	v_add_f32_e32 v45, v73, v45
	v_mul_f32_e32 v73, 0xbf06c442, v68
	v_add_f32_e32 v47, v51, v47
	v_fma_f32 v51, v59, s19, -v72
	v_add_f32_e32 v47, v51, v47
	v_fma_f32 v51, v60, s9, -v73
	v_mul_f32_e32 v52, 0xbf2c7751, v61
	v_add_f32_e32 v51, v51, v47
	v_mov_b32_e32 v47, v52
	v_mul_f32_e32 v69, 0xbf7ee86f, v62
	v_fmac_f32_e32 v47, 0x3f3d2fb0, v53
	v_mov_b32_e32 v70, v69
	v_add_f32_e32 v47, v29, v47
	v_fmac_f32_e32 v70, 0x3dbcf732, v54
	v_add_f32_e32 v47, v47, v70
	v_mul_f32_e32 v70, 0xbf4c4adb, v63
	v_mov_b32_e32 v71, v70
	v_fmac_f32_e32 v71, 0xbf1a4643, v55
	v_add_f32_e32 v47, v47, v71
	v_mul_f32_e32 v71, 0xbe3c28d5, v64
	v_mov_b32_e32 v72, v71
	;; [unrolled: 4-line block ×3, first 2 shown]
	v_mov_b32_e32 v73, v72
	v_fmac_f32_e32 v73, 0xbf59a7d5, v58
	v_fmac_f32_e32 v74, 0xbf59a7d5, v60
	v_add_f32_e32 v47, v73, v47
	v_mul_f32_e32 v73, 0x3f763a35, v66
	v_fma_f32 v52, v53, s16, -v52
	v_add_f32_e32 v45, v74, v45
	v_mov_b32_e32 v74, v73
	v_add_f32_e32 v52, v29, v52
	v_fma_f32 v69, v54, s19, -v69
	v_fmac_f32_e32 v74, 0xbe8c1d8e, v57
	v_add_f32_e32 v52, v52, v69
	v_fma_f32 v69, v55, s15, -v70
	v_add_f32_e32 v47, v74, v47
	v_mul_f32_e32 v74, 0x3f65296c, v67
	v_add_f32_e32 v52, v52, v69
	v_fma_f32 v69, v56, s8, -v71
	v_mov_b32_e32 v75, v74
	v_add_f32_e32 v52, v52, v69
	v_fma_f32 v69, v58, s9, -v72
	v_fmac_f32_e32 v75, 0x3ee437d1, v59
	v_add_f32_e32 v52, v69, v52
	v_fma_f32 v69, v57, s18, -v73
	v_add_f32_e32 v47, v75, v47
	v_mul_f32_e32 v75, 0x3eb8f4ab, v68
	v_add_f32_e32 v52, v69, v52
	v_fma_f32 v69, v59, s17, -v74
	v_add_f32_e32 v52, v69, v52
	v_fma_f32 v69, v60, s14, -v75
	v_add_f32_e32 v52, v69, v52
	v_mul_f32_e32 v69, 0xbeb8f4ab, v61
	v_mov_b32_e32 v61, v69
	v_fmac_f32_e32 v61, 0x3f6eb680, v53
	v_fma_f32 v53, v53, s14, -v69
	v_add_f32_e32 v61, v29, v61
	v_add_f32_e32 v53, v29, v53
	;; [unrolled: 1-line block ×3, first 2 shown]
	v_mul_f32_e32 v62, 0xbf2c7751, v62
	v_add_f32_e32 v29, v29, v31
	v_mov_b32_e32 v70, v62
	v_add_f32_e32 v29, v29, v25
	v_fmac_f32_e32 v70, 0x3f3d2fb0, v54
	v_mul_f32_e32 v63, 0xbf65296c, v63
	v_add_f32_e32 v29, v29, v21
	v_add_f32_e32 v61, v61, v70
	v_mov_b32_e32 v70, v63
	v_add_f32_e32 v29, v29, v17
	v_fmac_f32_e32 v70, 0x3ee437d1, v55
	v_mul_f32_e32 v64, 0xbf7ee86f, v64
	v_add_f32_e32 v29, v29, v15
	;; [unrolled: 6-line block ×3, first 2 shown]
	v_add_f32_e32 v61, v61, v70
	v_mov_b32_e32 v70, v65
	v_fma_f32 v54, v54, s16, -v62
	v_add_f32_e32 v29, v29, v9
	v_fmac_f32_e32 v70, 0xbe8c1d8e, v58
	v_mul_f32_e32 v66, 0xbf4c4adb, v66
	v_add_f32_e32 v53, v53, v54
	v_fma_f32 v54, v55, s17, -v63
	v_add_f32_e32 v29, v29, v13
	v_add_f32_e32 v61, v70, v61
	v_mov_b32_e32 v70, v66
	v_add_f32_e32 v53, v53, v54
	v_fma_f32 v54, v56, s19, -v64
	v_add_f32_e32 v29, v29, v19
	v_fmac_f32_e32 v70, 0xbf1a4643, v57
	v_mul_f32_e32 v67, 0xbf06c442, v67
	v_add_f32_e32 v53, v53, v54
	v_fma_f32 v54, v58, s18, -v65
	v_add_f32_e32 v29, v29, v23
	v_add_f32_e32 v61, v70, v61
	v_mov_b32_e32 v70, v67
	v_add_f32_e32 v53, v54, v53
	v_fma_f32 v54, v57, s15, -v66
	v_add_f32_e32 v29, v29, v27
	v_fmac_f32_e32 v70, 0xbf59a7d5, v59
	v_mul_f32_e32 v68, 0xbe3c28d5, v68
	v_add_f32_e32 v53, v54, v53
	v_fma_f32 v54, v59, s9, -v67
	v_add_f32_e32 v29, v33, v29
	v_mov_b32_e32 v76, v75
	v_add_f32_e32 v61, v70, v61
	v_mov_b32_e32 v70, v68
	v_add_f32_e32 v53, v54, v53
	v_fma_f32 v54, v60, s8, -v68
	v_add_f32_e32 v29, v37, v29
	s_movk_i32 s8, 0x44
	v_fmac_f32_e32 v76, 0x3f6eb680, v60
	v_fmac_f32_e32 v70, 0xbf7ba420, v60
	v_add_f32_e32 v53, v54, v53
	v_add_f32_e32 v54, v39, v29
	v_mad_u32_u24 v29, v3, s8, 0
	v_add_f32_e32 v47, v76, v47
	v_add_f32_e32 v61, v70, v61
	ds_write2_b32 v29, v54, v53 offset1:1
	ds_write2_b32 v29, v52, v51 offset0:2 offset1:3
	ds_write2_b32 v29, v50, v49 offset0:4 offset1:5
	;; [unrolled: 1-line block ×7, first 2 shown]
	ds_write_b32 v29, v61 offset:64
.LBB0_13:
	s_or_b64 exec, exec, s[6:7]
	v_lshl_add_u32 v0, v3, 2, 0
	v_add_u32_e32 v4, 0xa00, v0
	s_waitcnt vmcnt(16)
	v_add_u32_e32 v29, 0xe00, v0
	v_add_u32_e32 v56, 0x200, v0
	;; [unrolled: 1-line block ×5, first 2 shown]
	s_waitcnt vmcnt(0) lgkmcnt(0)
	s_barrier
	ds_read2_b32 v[47:48], v0 offset1:119
	ds_read2_b32 v[41:42], v4 offset0:74 offset1:193
	ds_read2_b32 v[51:52], v29 offset0:56 offset1:175
	;; [unrolled: 1-line block ×6, first 2 shown]
	s_waitcnt lgkmcnt(0)
	s_barrier
	s_and_saveexec_b64 s[6:7], s[2:3]
	s_cbranch_execz .LBB0_15
; %bb.14:
	v_add_f32_e32 v59, v30, v36
	v_add_f32_e32 v59, v59, v32
	v_add_f32_e32 v59, v59, v26
	v_add_f32_e32 v59, v59, v22
	v_add_f32_e32 v59, v59, v18
	v_add_f32_e32 v59, v59, v16
	v_add_f32_e32 v59, v59, v12
	v_add_f32_e32 v59, v59, v8
	v_add_f32_e32 v59, v59, v10
	v_add_f32_e32 v59, v59, v14
	v_add_f32_e32 v59, v59, v20
	v_add_f32_e32 v59, v59, v24
	v_add_f32_e32 v59, v59, v28
	v_sub_f32_e32 v35, v35, v39
	v_add_f32_e32 v59, v34, v59
	v_mul_f32_e32 v39, 0xbeb8f4ab, v35
	v_mul_f32_e32 v60, 0xbf2c7751, v35
	;; [unrolled: 1-line block ×8, first 2 shown]
	v_add_f32_e32 v59, v38, v59
	v_add_f32_e32 v36, v36, v40
	s_mov_b32 s14, 0x3f6eb680
	s_mov_b32 s8, 0x3f3d2fb0
	s_mov_b32 s3, 0x3ee437d1
	s_mov_b32 s2, 0x3dbcf732
	s_mov_b32 s9, 0xbe8c1d8e
	s_mov_b32 s15, 0xbf1a4643
	s_mov_b32 s16, 0xbf59a7d5
	s_mov_b32 s17, 0xbf7ba420
	v_mov_b32_e32 v72, v35
	v_add_f32_e32 v59, v40, v59
	v_fma_f32 v40, v36, s14, -v39
	v_fmac_f32_e32 v39, 0x3f6eb680, v36
	v_fma_f32 v61, v36, s8, -v60
	v_fmac_f32_e32 v60, 0x3f3d2fb0, v36
	;; [unrolled: 2-line block ×7, first 2 shown]
	v_fmac_f32_e32 v72, 0xbf7ba420, v36
	v_fma_f32 v35, v36, s17, -v35
	v_sub_f32_e32 v31, v31, v37
	v_add_f32_e32 v39, v30, v39
	v_add_f32_e32 v40, v30, v40
	;; [unrolled: 1-line block ×17, first 2 shown]
	v_mul_f32_e32 v35, 0xbf2c7751, v31
	v_fma_f32 v36, v32, s8, -v35
	v_fmac_f32_e32 v35, 0x3f3d2fb0, v32
	v_mul_f32_e32 v37, 0xbf7ee86f, v31
	v_add_f32_e32 v35, v39, v35
	v_fma_f32 v38, v32, s2, -v37
	v_fmac_f32_e32 v37, 0x3dbcf732, v32
	v_mul_f32_e32 v39, 0xbf4c4adb, v31
	v_add_f32_e32 v36, v40, v36
	v_add_f32_e32 v37, v60, v37
	v_fma_f32 v40, v32, s15, -v39
	v_fmac_f32_e32 v39, 0xbf1a4643, v32
	v_mul_f32_e32 v60, 0xbe3c28d5, v31
	v_add_f32_e32 v38, v61, v38
	;; [unrolled: 5-line block ×4, first 2 shown]
	v_add_f32_e32 v62, v66, v62
	v_fma_f32 v65, v32, s9, -v64
	v_fmac_f32_e32 v64, 0xbe8c1d8e, v32
	v_mul_f32_e32 v66, 0x3f65296c, v31
	v_mul_f32_e32 v31, 0x3eb8f4ab, v31
	v_add_f32_e32 v64, v68, v64
	v_mov_b32_e32 v68, v31
	v_fma_f32 v31, v32, s14, -v31
	v_sub_f32_e32 v25, v25, v33
	v_add_f32_e32 v30, v30, v31
	v_add_f32_e32 v26, v26, v34
	v_mul_f32_e32 v31, 0xbf65296c, v25
	v_add_f32_e32 v63, v67, v63
	v_fma_f32 v67, v32, s3, -v66
	v_fmac_f32_e32 v66, 0x3ee437d1, v32
	v_fmac_f32_e32 v68, 0x3f6eb680, v32
	v_fma_f32 v32, v26, s3, -v31
	v_fmac_f32_e32 v31, 0x3ee437d1, v26
	v_mul_f32_e32 v33, 0xbf4c4adb, v25
	v_add_f32_e32 v31, v35, v31
	v_fma_f32 v34, v26, s15, -v33
	v_fmac_f32_e32 v33, 0xbf1a4643, v26
	v_mul_f32_e32 v35, 0x3e3c28d5, v25
	v_add_f32_e32 v32, v36, v32
	v_add_f32_e32 v33, v37, v33
	v_fma_f32 v36, v26, s17, -v35
	v_fmac_f32_e32 v35, 0xbf7ba420, v26
	v_mul_f32_e32 v37, 0x3f763a35, v25
	v_add_f32_e32 v34, v38, v34
	v_add_f32_e32 v35, v39, v35
	v_fma_f32 v38, v26, s9, -v37
	v_fmac_f32_e32 v37, 0xbe8c1d8e, v26
	v_mul_f32_e32 v39, 0x3f2c7751, v25
	v_add_f32_e32 v36, v40, v36
	v_add_f32_e32 v37, v60, v37
	v_fma_f32 v40, v26, s8, -v39
	v_fmac_f32_e32 v39, 0x3f3d2fb0, v26
	v_mul_f32_e32 v60, 0xbeb8f4ab, v25
	v_add_f32_e32 v38, v61, v38
	v_add_f32_e32 v39, v62, v39
	v_fma_f32 v61, v26, s14, -v60
	v_fmac_f32_e32 v60, 0x3f6eb680, v26
	v_mul_f32_e32 v62, 0xbf7ee86f, v25
	v_mul_f32_e32 v25, 0xbf06c442, v25
	v_add_f32_e32 v60, v64, v60
	v_mov_b32_e32 v64, v25
	v_sub_f32_e32 v21, v21, v27
	v_add_f32_e32 v40, v63, v40
	v_fma_f32 v63, v26, s2, -v62
	v_fmac_f32_e32 v62, 0x3dbcf732, v26
	v_fmac_f32_e32 v64, 0xbf59a7d5, v26
	v_fma_f32 v25, v26, s16, -v25
	v_add_f32_e32 v22, v22, v28
	v_mul_f32_e32 v26, 0xbf7ee86f, v21
	v_fma_f32 v27, v22, s2, -v26
	v_fmac_f32_e32 v26, 0x3dbcf732, v22
	v_mul_f32_e32 v28, 0xbe3c28d5, v21
	v_add_f32_e32 v25, v30, v25
	v_add_f32_e32 v26, v31, v26
	v_fma_f32 v30, v22, s17, -v28
	v_fmac_f32_e32 v28, 0xbf7ba420, v22
	v_mul_f32_e32 v31, 0x3f763a35, v21
	v_add_f32_e32 v27, v32, v27
	v_add_f32_e32 v28, v33, v28
	v_fma_f32 v32, v22, s9, -v31
	v_fmac_f32_e32 v31, 0xbe8c1d8e, v22
	v_mul_f32_e32 v33, 0x3eb8f4ab, v21
	v_add_f32_e32 v30, v34, v30
	v_add_f32_e32 v31, v35, v31
	v_fma_f32 v34, v22, s14, -v33
	v_fmac_f32_e32 v33, 0x3f6eb680, v22
	v_mul_f32_e32 v35, 0xbf65296c, v21
	v_add_f32_e32 v32, v36, v32
	v_add_f32_e32 v33, v37, v33
	v_fma_f32 v36, v22, s3, -v35
	v_fmac_f32_e32 v35, 0x3ee437d1, v22
	v_mul_f32_e32 v37, 0xbf06c442, v21
	v_add_f32_e32 v34, v38, v34
	v_add_f32_e32 v35, v39, v35
	v_fma_f32 v38, v22, s16, -v37
	v_fmac_f32_e32 v37, 0xbf59a7d5, v22
	v_mul_f32_e32 v39, 0x3f4c4adb, v21
	v_mul_f32_e32 v21, 0x3f2c7751, v21
	v_add_f32_e32 v37, v60, v37
	v_mov_b32_e32 v60, v21
	v_sub_f32_e32 v17, v17, v23
	v_add_f32_e32 v36, v40, v36
	v_fma_f32 v40, v22, s15, -v39
	v_fmac_f32_e32 v39, 0xbf1a4643, v22
	v_fmac_f32_e32 v60, 0x3f3d2fb0, v22
	v_fma_f32 v21, v22, s8, -v21
	v_add_f32_e32 v18, v18, v24
	v_mul_f32_e32 v22, 0xbf763a35, v17
	v_fma_f32 v23, v18, s9, -v22
	v_fmac_f32_e32 v22, 0xbe8c1d8e, v18
	v_mul_f32_e32 v24, 0x3f06c442, v17
	v_add_f32_e32 v21, v25, v21
	;; [unrolled: 39-line block ×3, first 2 shown]
	v_add_f32_e32 v18, v18, v22
	v_fma_f32 v21, v16, s9, -v20
	v_fmac_f32_e32 v20, 0xbe8c1d8e, v16
	v_mul_f32_e32 v22, 0xbeb8f4ab, v15
	v_add_f32_e32 v19, v19, v23
	v_add_f32_e32 v20, v20, v24
	v_fma_f32 v23, v16, s14, -v22
	v_fmac_f32_e32 v22, 0x3f6eb680, v16
	v_mul_f32_e32 v24, 0xbf06c442, v15
	v_add_f32_e32 v21, v21, v25
	;; [unrolled: 5-line block ×4, first 2 shown]
	v_add_f32_e32 v26, v26, v31
	v_fma_f32 v30, v16, s8, -v28
	v_fmac_f32_e32 v28, 0x3f3d2fb0, v16
	v_mul_f32_e32 v31, 0xbe3c28d5, v15
	v_mul_f32_e32 v15, 0x3f65296c, v15
	v_sub_f32_e32 v11, v11, v13
	v_add_f32_e32 v28, v28, v33
	v_mov_b32_e32 v33, v15
	v_add_f32_e32 v12, v12, v14
	v_mul_f32_e32 v13, 0xbf06c442, v11
	v_add_f32_e32 v27, v27, v32
	v_fma_f32 v32, v16, s17, -v31
	v_fmac_f32_e32 v31, 0xbf7ba420, v16
	v_fmac_f32_e32 v33, 0x3ee437d1, v16
	v_fma_f32 v15, v16, s3, -v15
	v_fma_f32 v14, v12, s16, -v13
	v_fmac_f32_e32 v13, 0xbf59a7d5, v12
	v_mul_f32_e32 v16, 0x3f65296c, v11
	v_add_f32_e32 v15, v15, v17
	v_add_f32_e32 v13, v13, v18
	v_fma_f32 v17, v12, s3, -v16
	v_fmac_f32_e32 v16, 0x3ee437d1, v12
	v_mul_f32_e32 v18, 0xbf7ee86f, v11
	v_add_f32_e32 v14, v14, v19
	v_add_f32_e32 v16, v16, v20
	;; [unrolled: 5-line block ×5, first 2 shown]
	v_fma_f32 v25, v12, s17, -v24
	v_fmac_f32_e32 v24, 0xbf7ba420, v12
	v_mul_f32_e32 v26, 0x3f2c7751, v11
	v_mul_f32_e32 v11, 0xbf763a35, v11
	v_sub_f32_e32 v7, v7, v9
	v_add_f32_e32 v24, v24, v28
	v_mov_b32_e32 v28, v11
	v_add_f32_e32 v8, v8, v10
	v_mul_f32_e32 v9, 0xbe3c28d5, v7
	v_add_f32_e32 v23, v23, v27
	v_fma_f32 v27, v12, s8, -v26
	v_fmac_f32_e32 v26, 0x3f3d2fb0, v12
	v_fmac_f32_e32 v28, 0xbe8c1d8e, v12
	v_fma_f32 v11, v12, s9, -v11
	v_fma_f32 v10, v8, s17, -v9
	v_fmac_f32_e32 v9, 0xbf7ba420, v8
	v_mul_f32_e32 v12, 0x3eb8f4ab, v7
	v_add_f32_e32 v9, v9, v13
	v_add_f32_e32 v10, v10, v14
	v_fma_f32 v13, v8, s14, -v12
	v_fmac_f32_e32 v12, 0x3f6eb680, v8
	v_mul_f32_e32 v14, 0xbf06c442, v7
	v_add_f32_e32 v65, v69, v65
	v_add_f32_e32 v66, v70, v66
	v_add_f32_e32 v67, v71, v67
	v_add_f32_e32 v68, v72, v68
	v_add_f32_e32 v11, v11, v15
	v_add_f32_e32 v12, v12, v16
	v_fma_f32 v15, v8, s16, -v14
	v_fmac_f32_e32 v14, 0xbf59a7d5, v8
	v_mul_f32_e32 v16, 0x3f2c7751, v7
	v_add_f32_e32 v61, v65, v61
	v_add_f32_e32 v62, v66, v62
	v_add_f32_e32 v63, v67, v63
	v_add_f32_e32 v64, v68, v64
	;; [unrolled: 9-line block ×4, first 2 shown]
	v_add_f32_e32 v17, v17, v21
	v_add_f32_e32 v18, v18, v22
	v_fma_f32 v21, v8, s3, -v20
	v_fmac_f32_e32 v20, 0x3ee437d1, v8
	v_mul_f32_e32 v22, 0xbf763a35, v7
	v_mul_f32_e32 v7, 0x3f7ee86f, v7
	v_add_f32_e32 v30, v30, v34
	v_add_f32_e32 v31, v31, v35
	;; [unrolled: 1-line block ×5, first 2 shown]
	v_mov_b32_e32 v24, v7
	v_add_f32_e32 v25, v25, v30
	v_add_f32_e32 v26, v26, v31
	;; [unrolled: 1-line block ×5, first 2 shown]
	v_fma_f32 v23, v8, s9, -v22
	v_fmac_f32_e32 v22, 0xbe8c1d8e, v8
	v_fmac_f32_e32 v24, 0x3dbcf732, v8
	v_fma_f32 v7, v8, s2, -v7
	v_lshl_add_u32 v8, v3, 6, v0
	v_add_f32_e32 v21, v21, v25
	v_add_f32_e32 v22, v22, v26
	;; [unrolled: 1-line block ×5, first 2 shown]
	ds_write2_b32 v8, v59, v9 offset1:1
	ds_write2_b32 v8, v12, v14 offset0:2 offset1:3
	ds_write2_b32 v8, v16, v18 offset0:4 offset1:5
	;; [unrolled: 1-line block ×7, first 2 shown]
	ds_write_b32 v8, v10 offset:64
.LBB0_15:
	s_or_b64 exec, exec, s[6:7]
	s_load_dwordx2 s[2:3], s[4:5], 0x0
	v_add_u32_e32 v21, 0x77, v3
	s_movk_i32 s4, 0xf1
	v_mul_lo_u16_sdwa v28, v3, s4 dst_sel:DWORD dst_unused:UNUSED_PAD src0_sel:BYTE_0 src1_sel:DWORD
	v_mul_lo_u16_sdwa v59, v21, s4 dst_sel:DWORD dst_unused:UNUSED_PAD src0_sel:BYTE_0 src1_sel:DWORD
	v_lshrrev_b16_e32 v38, 12, v28
	v_lshrrev_b16_e32 v40, 12, v59
	v_mul_lo_u16_e32 v9, 17, v38
	v_mul_lo_u16_e32 v10, 17, v40
	v_add_u32_e32 v7, 0xee, v3
	v_sub_u16_e32 v39, v3, v9
	v_mov_b32_e32 v9, 3
	v_sub_u16_e32 v60, v21, v10
	s_mov_b32 s4, 0xf0f1
	v_lshlrev_b32_sdwa v17, v9, v39 dst_sel:DWORD dst_unused:UNUSED_PAD src0_sel:DWORD src1_sel:BYTE_0
	v_lshlrev_b32_sdwa v18, v9, v60 dst_sel:DWORD dst_unused:UNUSED_PAD src0_sel:DWORD src1_sel:BYTE_0
	v_mul_u32_u24_sdwa v9, v7, s4 dst_sel:DWORD dst_unused:UNUSED_PAD src0_sel:WORD_0 src1_sel:DWORD
	v_lshrrev_b32_e32 v61, 20, v9
	v_add_u32_e32 v8, 0x165, v3
	v_mul_lo_u16_e32 v9, 17, v61
	v_sub_u16_e32 v62, v7, v9
	v_mul_u32_u24_sdwa v7, v8, s4 dst_sel:DWORD dst_unused:UNUSED_PAD src0_sel:WORD_0 src1_sel:DWORD
	v_lshrrev_b32_e32 v63, 20, v7
	v_mul_lo_u16_e32 v7, 17, v63
	v_add_u32_e32 v15, 0x1dc, v3
	v_sub_u16_e32 v64, v8, v7
	s_waitcnt lgkmcnt(0)
	s_barrier
	v_lshlrev_b32_e32 v20, 3, v62
	v_lshlrev_b32_e32 v22, 3, v64
	global_load_dwordx2 v[7:8], v17, s[12:13]
	global_load_dwordx2 v[9:10], v18, s[12:13]
	;; [unrolled: 1-line block ×4, first 2 shown]
	v_mul_u32_u24_sdwa v17, v15, s4 dst_sel:DWORD dst_unused:UNUSED_PAD src0_sel:WORD_0 src1_sel:DWORD
	v_lshrrev_b32_e32 v65, 20, v17
	v_add_u32_e32 v16, 0x253, v3
	v_mul_lo_u16_e32 v17, 17, v65
	v_add_u32_e32 v19, 0x2ca, v3
	v_sub_u16_e32 v66, v15, v17
	v_mul_u32_u24_sdwa v17, v16, s4 dst_sel:DWORD dst_unused:UNUSED_PAD src0_sel:WORD_0 src1_sel:DWORD
	v_lshrrev_b32_e32 v67, 20, v17
	v_mul_u32_u24_sdwa v18, v19, s4 dst_sel:DWORD dst_unused:UNUSED_PAD src0_sel:WORD_0 src1_sel:DWORD
	v_mul_lo_u16_e32 v17, 17, v67
	v_lshrrev_b32_e32 v69, 20, v18
	v_sub_u16_e32 v68, v16, v17
	v_mul_lo_u16_e32 v20, 17, v69
	v_lshlrev_b32_e32 v15, 3, v66
	v_lshlrev_b32_e32 v17, 3, v68
	v_sub_u16_e32 v70, v19, v20
	global_load_dwordx2 v[15:16], v15, s[12:13]
	v_lshlrev_b32_e32 v19, 3, v70
	global_load_dwordx2 v[17:18], v17, s[12:13]
	v_mul_u32_u24_e32 v38, 0x88, v38
	global_load_dwordx2 v[19:20], v19, s[12:13]
	ds_read2_b32 v[22:23], v0 offset1:119
	ds_read2_b32 v[24:25], v4 offset0:74 offset1:193
	ds_read2_b32 v[26:27], v29 offset0:56 offset1:175
	;; [unrolled: 1-line block ×6, first 2 shown]
	s_waitcnt vmcnt(0) lgkmcnt(0)
	s_barrier
	v_lshrrev_b16_e32 v28, 13, v28
	s_mov_b32 s4, 0x3f5ff5aa
	s_mov_b32 s5, 0x3f3bfb3b
	;; [unrolled: 1-line block ×4, first 2 shown]
	s_movk_i32 s8, 0x3b8
	v_mul_f32_e32 v71, v25, v8
	v_mul_f32_e32 v8, v42, v8
	;; [unrolled: 1-line block ×8, first 2 shown]
	v_fma_f32 v42, v42, v7, -v71
	v_fmac_f32_e32 v8, v25, v7
	v_fma_f32 v25, v51, v9, -v72
	v_fmac_f32_e32 v10, v26, v9
	;; [unrolled: 2-line block ×4, first 2 shown]
	v_sub_f32_e32 v25, v48, v25
	v_fma_f32 v26, v48, 2.0, -v25
	v_sub_f32_e32 v9, v45, v9
	v_fma_f32 v27, v45, 2.0, -v9
	v_mul_f32_e32 v75, v33, v16
	v_mul_f32_e32 v16, v54, v16
	v_mul_f32_e32 v76, v36, v18
	v_mul_f32_e32 v18, v49, v18
	v_mul_f32_e32 v7, v37, v20
	v_fma_f32 v13, v54, v15, -v75
	v_fmac_f32_e32 v16, v33, v15
	v_fma_f32 v15, v49, v17, -v76
	v_fmac_f32_e32 v18, v36, v17
	v_mul_f32_e32 v17, v50, v20
	v_mov_b32_e32 v54, 2
	v_fma_f32 v7, v50, v19, -v7
	v_fmac_f32_e32 v17, v37, v19
	v_sub_f32_e32 v19, v47, v42
	v_lshlrev_b32_sdwa v39, v54, v39 dst_sel:DWORD dst_unused:UNUSED_PAD src0_sel:DWORD src1_sel:BYTE_0
	v_fma_f32 v20, v47, 2.0, -v19
	v_add3_u32 v48, 0, v38, v39
	ds_write2_b32 v48, v20, v19 offset1:17
	v_mul_u32_u24_e32 v19, 0x88, v40
	v_lshlrev_b32_sdwa v20, v54, v60 dst_sel:DWORD dst_unused:UNUSED_PAD src0_sel:DWORD src1_sel:BYTE_0
	v_add3_u32 v49, 0, v19, v20
	v_mul_u32_u24_e32 v19, 0x88, v61
	v_lshlrev_b32_e32 v20, 2, v62
	ds_write2_b32 v49, v26, v25 offset1:17
	v_add3_u32 v25, 0, v19, v20
	v_sub_f32_e32 v11, v46, v11
	ds_write2_b32 v25, v27, v9 offset1:17
	v_mul_u32_u24_e32 v9, 0x88, v63
	v_lshlrev_b32_e32 v19, 2, v64
	v_fma_f32 v32, v46, 2.0, -v11
	v_add3_u32 v9, 0, v9, v19
	v_sub_f32_e32 v13, v43, v13
	ds_write2_b32 v9, v32, v11 offset1:17
	v_mul_u32_u24_e32 v11, 0x88, v65
	v_lshlrev_b32_e32 v19, 2, v66
	v_fma_f32 v33, v43, 2.0, -v13
	;; [unrolled: 6-line block ×3, first 2 shown]
	v_add3_u32 v13, 0, v13, v19
	v_sub_f32_e32 v7, v41, v7
	ds_write2_b32 v13, v36, v15 offset1:17
	v_mul_u32_u24_e32 v15, 0x88, v69
	v_lshlrev_b32_e32 v19, 2, v70
	v_sub_f32_e32 v8, v22, v8
	v_fma_f32 v37, v41, 2.0, -v7
	v_add3_u32 v15, 0, v15, v19
	v_fma_f32 v22, v22, 2.0, -v8
	v_sub_f32_e32 v10, v23, v10
	v_sub_f32_e32 v12, v30, v12
	;; [unrolled: 1-line block ×6, first 2 shown]
	ds_write2_b32 v15, v37, v7 offset1:17
	v_mul_lo_u16_e32 v7, 34, v28
	v_fma_f32 v23, v23, 2.0, -v10
	v_fma_f32 v30, v30, 2.0, -v12
	;; [unrolled: 1-line block ×6, first 2 shown]
	s_waitcnt lgkmcnt(0)
	s_barrier
	ds_read2_b32 v[19:20], v0 offset1:119
	ds_read2_b32 v[26:27], v56 offset0:110 offset1:229
	ds_read2_b32 v[38:39], v58 offset0:92 offset1:211
	ds_read2_b32 v[40:41], v4 offset0:74 offset1:193
	ds_read2_b32 v[42:43], v29 offset0:56 offset1:175
	ds_read2_b32 v[44:45], v55 offset0:38 offset1:157
	ds_read2_b32 v[46:47], v57 offset0:20 offset1:139
	s_waitcnt lgkmcnt(0)
	s_barrier
	ds_write2_b32 v48, v22, v8 offset1:17
	ds_write2_b32 v49, v23, v10 offset1:17
	;; [unrolled: 1-line block ×7, first 2 shown]
	v_sub_u16_e32 v67, v3, v7
	v_mov_b32_e32 v22, 6
	v_mul_u32_u24_sdwa v7, v67, v22 dst_sel:DWORD dst_unused:UNUSED_PAD src0_sel:BYTE_0 src1_sel:DWORD
	v_lshlrev_b32_e32 v23, 3, v7
	s_waitcnt lgkmcnt(0)
	s_barrier
	global_load_dwordx4 v[7:10], v23, s[12:13] offset:136
	global_load_dwordx4 v[11:14], v23, s[12:13] offset:152
	;; [unrolled: 1-line block ×3, first 2 shown]
	v_lshrrev_b16_e32 v68, 13, v59
	v_mul_lo_u16_e32 v23, 34, v68
	v_sub_u16_e32 v69, v21, v23
	v_mul_u32_u24_sdwa v22, v69, v22 dst_sel:DWORD dst_unused:UNUSED_PAD src0_sel:BYTE_0 src1_sel:DWORD
	v_lshlrev_b32_e32 v48, 3, v22
	global_load_dwordx4 v[22:25], v48, s[12:13] offset:136
	global_load_dwordx4 v[30:33], v48, s[12:13] offset:152
	;; [unrolled: 1-line block ×3, first 2 shown]
	ds_read2_b32 v[48:49], v0 offset1:119
	ds_read2_b32 v[50:51], v56 offset0:110 offset1:229
	ds_read2_b32 v[52:53], v58 offset0:92 offset1:211
	ds_read2_b32 v[59:60], v4 offset0:74 offset1:193
	ds_read2_b32 v[61:62], v29 offset0:56 offset1:175
	ds_read2_b32 v[63:64], v55 offset0:38 offset1:157
	ds_read2_b32 v[65:66], v57 offset0:20 offset1:139
	s_waitcnt vmcnt(0) lgkmcnt(0)
	s_barrier
	v_mul_f32_e32 v70, v50, v8
	v_mul_f32_e32 v8, v26, v8
	v_fma_f32 v70, v26, v7, -v70
	v_fmac_f32_e32 v8, v50, v7
	v_mul_f32_e32 v7, v52, v10
	v_mul_f32_e32 v10, v38, v10
	v_fma_f32 v7, v38, v9, -v7
	v_fmac_f32_e32 v10, v52, v9
	;; [unrolled: 4-line block ×12, first 2 shown]
	v_add_f32_e32 v35, v70, v15
	v_add_f32_e32 v36, v8, v18
	v_sub_f32_e32 v8, v8, v18
	v_add_f32_e32 v18, v7, v13
	v_add_f32_e32 v37, v10, v16
	v_sub_f32_e32 v7, v7, v13
	v_sub_f32_e32 v10, v10, v16
	v_add_f32_e32 v13, v9, v11
	v_add_f32_e32 v16, v12, v14
	v_sub_f32_e32 v9, v11, v9
	v_sub_f32_e32 v11, v14, v12
	v_add_f32_e32 v12, v18, v35
	v_sub_f32_e32 v15, v70, v15
	v_add_f32_e32 v14, v37, v36
	v_add_f32_e32 v40, v9, v7
	v_add_f32_e32 v12, v13, v12
	v_sub_f32_e32 v38, v18, v35
	v_sub_f32_e32 v35, v35, v13
	;; [unrolled: 1-line block ×6, first 2 shown]
	v_add_f32_e32 v13, v16, v14
	v_add_f32_e32 v14, v40, v15
	;; [unrolled: 1-line block ×3, first 2 shown]
	v_sub_f32_e32 v39, v37, v36
	v_sub_f32_e32 v36, v36, v16
	;; [unrolled: 1-line block ×3, first 2 shown]
	v_add_f32_e32 v41, v11, v10
	v_sub_f32_e32 v43, v11, v10
	v_sub_f32_e32 v10, v10, v8
	v_add_f32_e32 v40, v48, v13
	v_mov_b32_e32 v45, v15
	v_sub_f32_e32 v11, v8, v11
	v_add_f32_e32 v8, v41, v8
	v_mul_f32_e32 v16, 0x3f4a47b2, v35
	v_mul_f32_e32 v19, 0x3f4a47b2, v36
	v_mul_f32_e32 v35, 0x3d64c772, v18
	v_mul_f32_e32 v36, 0x3d64c772, v37
	v_mul_f32_e32 v41, 0xbf08b237, v42
	v_mul_f32_e32 v42, 0xbf08b237, v43
	v_mul_f32_e32 v44, 0x3f5ff5aa, v10
	v_fmac_f32_e32 v45, 0xbf955555, v12
	v_mov_b32_e32 v12, v40
	v_mul_f32_e32 v43, 0x3f5ff5aa, v7
	v_fmac_f32_e32 v12, 0xbf955555, v13
	v_fma_f32 v13, v38, s5, -v35
	v_fma_f32 v35, v39, s5, -v36
	;; [unrolled: 1-line block ×5, first 2 shown]
	v_fmac_f32_e32 v42, 0x3eae86e6, v11
	v_fma_f32 v11, v11, s7, -v44
	v_fmac_f32_e32 v16, 0x3d64c772, v18
	v_fma_f32 v18, v39, s6, -v19
	v_fmac_f32_e32 v19, 0x3d64c772, v37
	v_fmac_f32_e32 v41, 0x3eae86e6, v9
	v_fma_f32 v9, v9, s7, -v43
	v_add_f32_e32 v13, v13, v45
	v_add_f32_e32 v35, v35, v12
	;; [unrolled: 1-line block ×3, first 2 shown]
	v_fmac_f32_e32 v7, 0x3ee1c552, v14
	v_fmac_f32_e32 v10, 0x3ee1c552, v8
	;; [unrolled: 1-line block ×3, first 2 shown]
	v_add_f32_e32 v16, v16, v45
	v_add_f32_e32 v19, v19, v12
	;; [unrolled: 1-line block ×3, first 2 shown]
	v_fmac_f32_e32 v41, 0x3ee1c552, v14
	v_fmac_f32_e32 v42, 0x3ee1c552, v8
	;; [unrolled: 1-line block ×3, first 2 shown]
	v_add_f32_e32 v14, v11, v36
	v_sub_f32_e32 v18, v13, v10
	v_add_f32_e32 v39, v7, v35
	v_add_f32_e32 v10, v10, v13
	v_sub_f32_e32 v35, v35, v7
	v_sub_f32_e32 v7, v36, v11
	v_add_f32_e32 v11, v17, v33
	v_sub_f32_e32 v13, v17, v33
	v_add_f32_e32 v17, v22, v31
	v_add_f32_e32 v8, v42, v16
	v_sub_f32_e32 v37, v19, v41
	v_sub_f32_e32 v38, v12, v9
	v_add_f32_e32 v36, v9, v12
	v_sub_f32_e32 v9, v16, v42
	v_add_f32_e32 v41, v41, v19
	v_add_f32_e32 v12, v23, v34
	v_sub_f32_e32 v16, v23, v34
	v_add_f32_e32 v19, v25, v32
	v_sub_f32_e32 v23, v25, v32
	v_add_f32_e32 v25, v24, v27
	v_sub_f32_e32 v24, v27, v24
	v_add_f32_e32 v27, v17, v11
	v_sub_f32_e32 v22, v22, v31
	v_add_f32_e32 v31, v26, v30
	v_sub_f32_e32 v26, v30, v26
	v_add_f32_e32 v30, v19, v12
	v_sub_f32_e32 v32, v17, v11
	v_sub_f32_e32 v11, v11, v25
	v_sub_f32_e32 v17, v25, v17
	v_add_f32_e32 v25, v25, v27
	v_add_f32_e32 v27, v31, v30
	;; [unrolled: 1-line block ×3, first 2 shown]
	v_sub_f32_e32 v33, v19, v12
	v_sub_f32_e32 v12, v12, v31
	;; [unrolled: 1-line block ×3, first 2 shown]
	v_add_f32_e32 v34, v24, v22
	v_add_f32_e32 v42, v26, v23
	v_sub_f32_e32 v43, v24, v22
	v_sub_f32_e32 v44, v26, v23
	;; [unrolled: 1-line block ×4, first 2 shown]
	v_add_f32_e32 v30, v49, v27
	v_mov_b32_e32 v46, v20
	v_sub_f32_e32 v24, v13, v24
	v_sub_f32_e32 v26, v16, v26
	v_add_f32_e32 v13, v34, v13
	v_add_f32_e32 v16, v42, v16
	v_mul_f32_e32 v11, 0x3f4a47b2, v11
	v_mul_f32_e32 v12, 0x3f4a47b2, v12
	;; [unrolled: 1-line block ×8, first 2 shown]
	v_fmac_f32_e32 v46, 0xbf955555, v25
	v_mov_b32_e32 v25, v30
	v_fmac_f32_e32 v25, 0xbf955555, v27
	v_fma_f32 v27, v32, s5, -v31
	v_fma_f32 v31, v33, s5, -v34
	;; [unrolled: 1-line block ×3, first 2 shown]
	v_fmac_f32_e32 v11, 0x3d64c772, v17
	v_fma_f32 v17, v33, s6, -v12
	v_fmac_f32_e32 v12, 0x3d64c772, v19
	v_fma_f32 v19, v22, s4, -v42
	;; [unrolled: 2-line block ×3, first 2 shown]
	v_fma_f32 v23, v24, s7, -v44
	v_fma_f32 v24, v26, s7, -v45
	v_fmac_f32_e32 v43, 0x3eae86e6, v26
	v_add_f32_e32 v12, v12, v25
	v_add_f32_e32 v26, v27, v46
	;; [unrolled: 1-line block ×5, first 2 shown]
	v_fmac_f32_e32 v42, 0x3ee1c552, v13
	v_fmac_f32_e32 v19, 0x3ee1c552, v13
	;; [unrolled: 1-line block ×6, first 2 shown]
	v_sub_f32_e32 v25, v12, v42
	v_add_f32_e32 v16, v24, v31
	v_sub_f32_e32 v32, v17, v23
	v_sub_f32_e32 v33, v26, v22
	v_add_f32_e32 v34, v19, v27
	v_add_f32_e32 v22, v22, v26
	v_sub_f32_e32 v26, v27, v19
	v_sub_f32_e32 v19, v31, v24
	v_add_f32_e32 v23, v23, v17
	v_add_f32_e32 v24, v42, v12
	v_mul_u32_u24_e32 v12, 0x3b8, v28
	v_lshlrev_b32_sdwa v17, v54, v67 dst_sel:DWORD dst_unused:UNUSED_PAD src0_sel:DWORD src1_sel:BYTE_0
	v_add3_u32 v27, 0, v12, v17
	v_add_f32_e32 v11, v11, v46
	ds_write2_b32 v27, v15, v8 offset1:34
	ds_write2_b32 v27, v14, v18 offset0:68 offset1:102
	ds_write2_b32 v27, v10, v7 offset0:136 offset1:170
	ds_write_b32 v27, v9 offset:816
	v_mul_u32_u24_e32 v7, 0x3b8, v68
	v_lshlrev_b32_sdwa v8, v54, v69 dst_sel:DWORD dst_unused:UNUSED_PAD src0_sel:DWORD src1_sel:BYTE_0
	v_add_f32_e32 v13, v43, v11
	v_sub_f32_e32 v11, v11, v43
	v_add3_u32 v28, 0, v7, v8
	ds_write2_b32 v28, v20, v13 offset1:34
	ds_write2_b32 v28, v16, v33 offset0:68 offset1:102
	ds_write2_b32 v28, v22, v19 offset0:136 offset1:170
	ds_write_b32 v28, v11 offset:816
	s_waitcnt lgkmcnt(0)
	s_barrier
	ds_read2_b32 v[7:8], v0 offset1:119
	ds_read2_b32 v[17:18], v56 offset0:110 offset1:229
	ds_read2_b32 v[9:10], v58 offset0:92 offset1:211
	;; [unrolled: 1-line block ×6, first 2 shown]
	s_waitcnt lgkmcnt(0)
	s_barrier
	ds_write2_b32 v27, v40, v37 offset1:34
	ds_write2_b32 v27, v38, v39 offset0:68 offset1:102
	ds_write2_b32 v27, v35, v36 offset0:136 offset1:170
	ds_write_b32 v27, v41 offset:816
	ds_write2_b32 v28, v30, v25 offset1:34
	ds_write2_b32 v28, v32, v34 offset0:68 offset1:102
	ds_write2_b32 v28, v26, v23 offset0:136 offset1:170
	ds_write_b32 v28, v24 offset:816
	s_waitcnt lgkmcnt(0)
	s_barrier
	s_and_saveexec_b64 s[14:15], s[0:1]
	s_cbranch_execz .LBB0_17
; %bb.16:
	v_mul_u32_u24_e32 v4, 6, v21
	v_lshlrev_b32_e32 v4, 3, v4
	global_load_dwordx4 v[22:25], v4, s[12:13] offset:1768
	global_load_dwordx4 v[26:29], v4, s[12:13] offset:1800
	;; [unrolled: 1-line block ×3, first 2 shown]
	v_add_u32_e32 v34, 0x200, v0
	v_add_u32_e32 v35, 0x1600, v0
	;; [unrolled: 1-line block ×6, first 2 shown]
	ds_read2_b32 v[46:47], v0 offset1:119
	v_mul_u32_u24_e32 v0, 6, v3
	v_lshlrev_b32_e32 v0, 3, v0
	ds_read2_b32 v[48:49], v34 offset0:110 offset1:229
	ds_read2_b32 v[50:51], v35 offset0:20 offset1:139
	;; [unrolled: 1-line block ×6, first 2 shown]
	global_load_dwordx4 v[34:37], v0, s[12:13] offset:1768
	global_load_dwordx4 v[38:41], v0, s[12:13] offset:1800
	;; [unrolled: 1-line block ×3, first 2 shown]
	v_mul_lo_u32 v4, s3, v5
	v_mul_lo_u32 v60, s2, v6
	v_mad_u64_u32 v[5:6], s[0:1], s2, v5, 0
	s_movk_i32 s0, 0x1000
	s_mov_b32 s2, 0x44d72045
	v_add3_u32 v6, v6, v60, v4
	v_lshlrev_b64 v[5:6], 3, v[5:6]
	s_movk_i32 s1, 0x2000
	v_add_co_u32_e32 v5, vcc, s10, v5
	s_waitcnt vmcnt(5)
	v_mul_f32_e32 v64, v18, v23
	s_waitcnt vmcnt(4) lgkmcnt(4)
	v_mul_f32_e32 v4, v51, v29
	s_waitcnt lgkmcnt(0)
	v_mul_f32_e32 v63, v59, v27
	v_mul_f32_e32 v29, v20, v29
	;; [unrolled: 1-line block ×5, first 2 shown]
	s_waitcnt vmcnt(3)
	v_mul_f32_e32 v60, v53, v33
	v_mul_f32_e32 v61, v55, v31
	;; [unrolled: 1-line block ×5, first 2 shown]
	v_fmac_f32_e32 v29, v28, v51
	v_fmac_f32_e32 v64, v22, v49
	;; [unrolled: 1-line block ×4, first 2 shown]
	v_fma_f32 v0, v18, v22, -v0
	v_fma_f32 v4, v20, v28, -v4
	;; [unrolled: 1-line block ×5, first 2 shown]
	v_fmac_f32_e32 v31, v30, v55
	v_fmac_f32_e32 v33, v32, v53
	v_add_f32_e32 v28, v64, v29
	v_add_f32_e32 v30, v65, v27
	v_fma_f32 v14, v14, v32, -v60
	v_sub_f32_e32 v18, v0, v4
	v_sub_f32_e32 v26, v10, v12
	v_add_f32_e32 v22, v33, v31
	v_add_f32_e32 v0, v0, v4
	;; [unrolled: 1-line block ×4, first 2 shown]
	v_sub_f32_e32 v20, v14, v16
	v_add_f32_e32 v4, v14, v16
	v_sub_f32_e32 v23, v22, v30
	v_add_f32_e32 v49, v0, v10
	v_add_f32_e32 v24, v22, v24
	v_sub_f32_e32 v14, v20, v26
	v_add_f32_e32 v16, v20, v26
	v_sub_f32_e32 v25, v0, v4
	v_sub_f32_e32 v32, v4, v10
	v_mul_f32_e32 v53, 0x3d64c772, v23
	v_add_f32_e32 v4, v4, v49
	v_add_f32_e32 v23, v47, v24
	v_sub_f32_e32 v12, v18, v20
	v_sub_f32_e32 v20, v28, v22
	v_mul_f32_e32 v14, 0xbf08b237, v14
	v_add_f32_e32 v16, v18, v16
	v_mul_f32_e32 v32, 0x3d64c772, v32
	v_mov_b32_e32 v57, v53
	v_add_f32_e32 v22, v8, v4
	v_mov_b32_e32 v8, v23
	v_sub_f32_e32 v18, v26, v18
	v_mul_f32_e32 v51, 0x3f4a47b2, v20
	v_mov_b32_e32 v49, v14
	v_mov_b32_e32 v47, v32
	v_fmac_f32_e32 v57, 0x3f4a47b2, v20
	v_mov_b32_e32 v20, v22
	v_fmac_f32_e32 v8, 0xbf955555, v24
	v_sub_f32_e32 v29, v64, v29
	v_sub_f32_e32 v24, v33, v31
	;; [unrolled: 1-line block ×3, first 2 shown]
	v_mul_f32_e32 v26, 0x3f5ff5aa, v18
	v_sub_f32_e32 v28, v30, v28
	v_fmac_f32_e32 v49, 0x3eae86e6, v12
	v_fmac_f32_e32 v47, 0x3f4a47b2, v25
	;; [unrolled: 1-line block ×3, first 2 shown]
	v_sub_f32_e32 v27, v24, v33
	v_fma_f32 v12, v12, s7, -v26
	v_fma_f32 v26, v28, s6, -v51
	v_sub_f32_e32 v30, v33, v29
	v_mul_f32_e32 v55, 0x3f4a47b2, v25
	v_add_f32_e32 v4, v47, v20
	v_sub_f32_e32 v31, v29, v24
	v_mul_f32_e32 v47, 0xbf08b237, v27
	v_add_f32_e32 v24, v24, v33
	v_add_f32_e32 v51, v26, v8
	v_sub_f32_e32 v0, v10, v0
	v_mul_f32_e32 v26, 0x3f5ff5aa, v30
	v_mov_b32_e32 v59, v47
	v_add_f32_e32 v60, v29, v24
	v_fma_f32 v10, v0, s6, -v55
	v_fma_f32 v55, v31, s7, -v26
	;; [unrolled: 1-line block ×4, first 2 shown]
	v_fmac_f32_e32 v49, 0x3ee1c552, v16
	v_add_f32_e32 v57, v57, v8
	v_fmac_f32_e32 v59, 0x3eae86e6, v31
	v_fmac_f32_e32 v12, 0x3ee1c552, v16
	v_add_f32_e32 v10, v10, v20
	v_fmac_f32_e32 v55, 0x3ee1c552, v60
	v_add_f32_e32 v8, v28, v8
	v_fmac_f32_e32 v14, 0x3ee1c552, v16
	v_fma_f32 v16, v30, s4, -v47
	v_fma_f32 v0, v0, s5, -v32
	v_fmac_f32_e32 v59, 0x3ee1c552, v60
	v_sub_f32_e32 v26, v10, v55
	v_sub_f32_e32 v29, v8, v14
	v_fmac_f32_e32 v16, 0x3ee1c552, v60
	v_add_f32_e32 v0, v0, v20
	v_add_f32_e32 v31, v14, v8
	;; [unrolled: 1-line block ×3, first 2 shown]
	s_waitcnt vmcnt(0)
	v_mul_f32_e32 v8, v52, v45
	v_mul_f32_e32 v10, v56, v37
	v_sub_f32_e32 v24, v4, v59
	v_add_f32_e32 v28, v16, v0
	v_sub_f32_e32 v30, v0, v16
	v_add_f32_e32 v59, v59, v4
	v_mul_f32_e32 v0, v48, v35
	v_mul_f32_e32 v4, v50, v41
	v_fma_f32 v14, v13, v44, -v8
	v_mul_f32_e32 v8, v54, v43
	v_fma_f32 v20, v9, v36, -v10
	;; [unrolled: 2-line block ×3, first 2 shown]
	v_fma_f32 v4, v19, v40, -v4
	v_fma_f32 v16, v15, v42, -v8
	;; [unrolled: 1-line block ×3, first 2 shown]
	v_add_f32_e32 v25, v49, v57
	v_add_f32_e32 v27, v12, v51
	v_sub_f32_e32 v33, v51, v12
	v_sub_f32_e32 v60, v57, v49
	;; [unrolled: 1-line block ×4, first 2 shown]
	v_mul_f32_e32 v19, v19, v41
	v_add_f32_e32 v0, v0, v4
	v_add_f32_e32 v4, v14, v16
	v_add_f32_e32 v20, v20, v47
	v_sub_f32_e32 v8, v14, v16
	v_fmac_f32_e32 v19, v40, v50
	v_mul_f32_e32 v15, v15, v43
	v_mul_f32_e32 v13, v13, v45
	;; [unrolled: 1-line block ×4, first 2 shown]
	v_sub_f32_e32 v40, v4, v20
	v_sub_f32_e32 v18, v12, v8
	;; [unrolled: 1-line block ×3, first 2 shown]
	v_add_f32_e32 v8, v8, v49
	v_fmac_f32_e32 v15, v42, v54
	v_fmac_f32_e32 v13, v44, v52
	;; [unrolled: 1-line block ×4, first 2 shown]
	v_mul_f32_e32 v40, 0x3d64c772, v40
	v_add_f32_e32 v55, v12, v8
	v_mul_f32_e32 v17, v17, v35
	v_add_f32_e32 v8, v13, v15
	v_add_f32_e32 v36, v9, v11
	v_sub_f32_e32 v14, v0, v4
	v_mov_b32_e32 v41, v40
	v_fmac_f32_e32 v17, v34, v48
	v_sub_f32_e32 v37, v8, v36
	v_mul_f32_e32 v16, 0x3f4a47b2, v14
	v_fmac_f32_e32 v41, 0x3f4a47b2, v14
	v_add_f32_e32 v14, v0, v20
	v_add_f32_e32 v34, v17, v19
	v_mul_f32_e32 v37, 0x3d64c772, v37
	v_add_f32_e32 v4, v4, v14
	v_mul_f32_e32 v51, 0xbf08b237, v10
	v_sub_f32_e32 v10, v34, v8
	v_mov_b32_e32 v38, v37
	v_add_f32_e32 v7, v7, v4
	v_mul_f32_e32 v35, 0x3f4a47b2, v10
	v_fmac_f32_e32 v38, 0x3f4a47b2, v10
	v_add_f32_e32 v10, v34, v36
	v_mov_b32_e32 v42, v7
	v_add_f32_e32 v10, v8, v10
	v_fmac_f32_e32 v42, 0xbf955555, v4
	v_sub_f32_e32 v13, v13, v15
	v_sub_f32_e32 v11, v9, v11
	;; [unrolled: 1-line block ×3, first 2 shown]
	v_add_f32_e32 v8, v46, v10
	v_add_f32_e32 v4, v41, v42
	v_sub_f32_e32 v14, v17, v19
	v_sub_f32_e32 v9, v13, v11
	;; [unrolled: 1-line block ×3, first 2 shown]
	v_fma_f32 v16, v0, s6, -v16
	v_mov_b32_e32 v53, v51
	v_mov_b32_e32 v39, v8
	v_mul_f32_e32 v17, 0xbf08b237, v9
	v_add_f32_e32 v9, v13, v11
	v_mul_f32_e32 v12, 0x3f5ff5aa, v41
	v_sub_f32_e32 v34, v36, v34
	v_add_f32_e32 v20, v16, v42
	v_sub_f32_e32 v16, v11, v14
	v_fmac_f32_e32 v53, 0x3eae86e6, v18
	v_fmac_f32_e32 v39, 0xbf955555, v10
	v_sub_f32_e32 v15, v14, v13
	v_mov_b32_e32 v19, v17
	v_add_f32_e32 v13, v14, v9
	v_fma_f32 v18, v18, s7, -v12
	v_fma_f32 v12, v34, s6, -v35
	v_mul_f32_e32 v11, 0x3f5ff5aa, v16
	v_fma_f32 v14, v34, s5, -v37
	v_fma_f32 v34, v41, s4, -v51
	;; [unrolled: 1-line block ×4, first 2 shown]
	v_fmac_f32_e32 v19, 0x3eae86e6, v15
	v_fma_f32 v36, v15, s7, -v11
	v_add_f32_e32 v15, v14, v39
	v_fmac_f32_e32 v34, 0x3ee1c552, v55
	v_fmac_f32_e32 v17, 0x3ee1c552, v13
	v_add_f32_e32 v0, v0, v42
	v_fmac_f32_e32 v19, 0x3ee1c552, v13
	v_fmac_f32_e32 v36, 0x3ee1c552, v13
	v_sub_f32_e32 v14, v15, v34
	v_add_f32_e32 v13, v17, v0
	v_add_f32_e32 v16, v34, v15
	v_sub_f32_e32 v15, v0, v17
	v_mov_b32_e32 v0, s11
	v_addc_co_u32_e32 v6, vcc, v0, v6, vcc
	v_lshlrev_b64 v[0:1], 3, v[1:2]
	v_sub_f32_e32 v9, v4, v19
	v_add_f32_e32 v19, v19, v4
	v_mov_b32_e32 v4, 0
	v_add_co_u32_e32 v2, vcc, v5, v0
	v_addc_co_u32_e32 v5, vcc, v6, v1, vcc
	v_lshlrev_b64 v[0:1], 3, v[3:4]
	v_fmac_f32_e32 v53, 0x3ee1c552, v55
	v_add_co_u32_e32 v0, vcc, v2, v0
	v_addc_co_u32_e32 v1, vcc, v5, v1, vcc
	v_add_co_u32_e32 v2, vcc, s0, v0
	v_mul_hi_u32 v5, v21, s2
	v_add_f32_e32 v38, v38, v39
	v_fmac_f32_e32 v18, 0x3ee1c552, v55
	v_add_f32_e32 v35, v12, v39
	v_addc_co_u32_e32 v3, vcc, 0, v1, vcc
	v_add_f32_e32 v12, v18, v35
	v_sub_f32_e32 v11, v20, v36
	v_sub_f32_e32 v18, v35, v18
	v_add_f32_e32 v17, v36, v20
	v_sub_f32_e32 v20, v38, v53
	global_store_dwordx2 v[0:1], v[7:8], off
	global_store_dwordx2 v[0:1], v[19:20], off offset:1904
	global_store_dwordx2 v[0:1], v[17:18], off offset:3808
	;; [unrolled: 1-line block ×4, first 2 shown]
	v_add_co_u32_e32 v2, vcc, s1, v0
	v_addc_co_u32_e32 v3, vcc, 0, v1, vcc
	v_add_f32_e32 v10, v53, v38
	global_store_dwordx2 v[2:3], v[11:12], off offset:1328
	global_store_dwordx2 v[2:3], v[9:10], off offset:3232
	v_lshrrev_b32_e32 v2, 6, v5
	v_mul_u32_u24_e32 v3, 0x594, v2
	v_lshlrev_b64 v[2:3], 3, v[3:4]
	v_add_co_u32_e32 v0, vcc, v0, v2
	v_addc_co_u32_e32 v1, vcc, v1, v3, vcc
	v_add_co_u32_e32 v2, vcc, s8, v0
	v_addc_co_u32_e32 v3, vcc, 0, v1, vcc
	global_store_dwordx2 v[0:1], v[22:23], off offset:952
	global_store_dwordx2 v[0:1], v[59:60], off offset:2856
	;; [unrolled: 1-line block ×3, first 2 shown]
	v_add_co_u32_e32 v2, vcc, s0, v0
	v_addc_co_u32_e32 v3, vcc, 0, v1, vcc
	global_store_dwordx2 v[2:3], v[30:31], off offset:2568
	v_add_co_u32_e32 v2, vcc, 0x2000, v0
	v_addc_co_u32_e32 v3, vcc, 0, v1, vcc
	v_add_co_u32_e32 v0, vcc, 0x3000, v0
	v_addc_co_u32_e32 v1, vcc, 0, v1, vcc
	global_store_dwordx2 v[2:3], v[28:29], off offset:376
	global_store_dwordx2 v[2:3], v[26:27], off offset:2280
	;; [unrolled: 1-line block ×3, first 2 shown]
.LBB0_17:
	s_endpgm
	.section	.rodata,"a",@progbits
	.p2align	6, 0x0
	.amdhsa_kernel fft_rtc_fwd_len1666_factors_17_2_7_7_wgs_119_tpt_119_halfLds_sp_op_CI_CI_unitstride_sbrr_dirReg
		.amdhsa_group_segment_fixed_size 0
		.amdhsa_private_segment_fixed_size 0
		.amdhsa_kernarg_size 104
		.amdhsa_user_sgpr_count 6
		.amdhsa_user_sgpr_private_segment_buffer 1
		.amdhsa_user_sgpr_dispatch_ptr 0
		.amdhsa_user_sgpr_queue_ptr 0
		.amdhsa_user_sgpr_kernarg_segment_ptr 1
		.amdhsa_user_sgpr_dispatch_id 0
		.amdhsa_user_sgpr_flat_scratch_init 0
		.amdhsa_user_sgpr_private_segment_size 0
		.amdhsa_uses_dynamic_stack 0
		.amdhsa_system_sgpr_private_segment_wavefront_offset 0
		.amdhsa_system_sgpr_workgroup_id_x 1
		.amdhsa_system_sgpr_workgroup_id_y 0
		.amdhsa_system_sgpr_workgroup_id_z 0
		.amdhsa_system_sgpr_workgroup_info 0
		.amdhsa_system_vgpr_workitem_id 0
		.amdhsa_next_free_vgpr 77
		.amdhsa_next_free_sgpr 28
		.amdhsa_reserve_vcc 1
		.amdhsa_reserve_flat_scratch 0
		.amdhsa_float_round_mode_32 0
		.amdhsa_float_round_mode_16_64 0
		.amdhsa_float_denorm_mode_32 3
		.amdhsa_float_denorm_mode_16_64 3
		.amdhsa_dx10_clamp 1
		.amdhsa_ieee_mode 1
		.amdhsa_fp16_overflow 0
		.amdhsa_exception_fp_ieee_invalid_op 0
		.amdhsa_exception_fp_denorm_src 0
		.amdhsa_exception_fp_ieee_div_zero 0
		.amdhsa_exception_fp_ieee_overflow 0
		.amdhsa_exception_fp_ieee_underflow 0
		.amdhsa_exception_fp_ieee_inexact 0
		.amdhsa_exception_int_div_zero 0
	.end_amdhsa_kernel
	.text
.Lfunc_end0:
	.size	fft_rtc_fwd_len1666_factors_17_2_7_7_wgs_119_tpt_119_halfLds_sp_op_CI_CI_unitstride_sbrr_dirReg, .Lfunc_end0-fft_rtc_fwd_len1666_factors_17_2_7_7_wgs_119_tpt_119_halfLds_sp_op_CI_CI_unitstride_sbrr_dirReg
                                        ; -- End function
	.section	.AMDGPU.csdata,"",@progbits
; Kernel info:
; codeLenInByte = 10816
; NumSgprs: 32
; NumVgprs: 77
; ScratchSize: 0
; MemoryBound: 0
; FloatMode: 240
; IeeeMode: 1
; LDSByteSize: 0 bytes/workgroup (compile time only)
; SGPRBlocks: 3
; VGPRBlocks: 19
; NumSGPRsForWavesPerEU: 32
; NumVGPRsForWavesPerEU: 77
; Occupancy: 3
; WaveLimiterHint : 1
; COMPUTE_PGM_RSRC2:SCRATCH_EN: 0
; COMPUTE_PGM_RSRC2:USER_SGPR: 6
; COMPUTE_PGM_RSRC2:TRAP_HANDLER: 0
; COMPUTE_PGM_RSRC2:TGID_X_EN: 1
; COMPUTE_PGM_RSRC2:TGID_Y_EN: 0
; COMPUTE_PGM_RSRC2:TGID_Z_EN: 0
; COMPUTE_PGM_RSRC2:TIDIG_COMP_CNT: 0
	.type	__hip_cuid_50ec9d202e69a605,@object ; @__hip_cuid_50ec9d202e69a605
	.section	.bss,"aw",@nobits
	.globl	__hip_cuid_50ec9d202e69a605
__hip_cuid_50ec9d202e69a605:
	.byte	0                               ; 0x0
	.size	__hip_cuid_50ec9d202e69a605, 1

	.ident	"AMD clang version 19.0.0git (https://github.com/RadeonOpenCompute/llvm-project roc-6.4.0 25133 c7fe45cf4b819c5991fe208aaa96edf142730f1d)"
	.section	".note.GNU-stack","",@progbits
	.addrsig
	.addrsig_sym __hip_cuid_50ec9d202e69a605
	.amdgpu_metadata
---
amdhsa.kernels:
  - .args:
      - .actual_access:  read_only
        .address_space:  global
        .offset:         0
        .size:           8
        .value_kind:     global_buffer
      - .offset:         8
        .size:           8
        .value_kind:     by_value
      - .actual_access:  read_only
        .address_space:  global
        .offset:         16
        .size:           8
        .value_kind:     global_buffer
      - .actual_access:  read_only
        .address_space:  global
        .offset:         24
        .size:           8
        .value_kind:     global_buffer
      - .actual_access:  read_only
        .address_space:  global
        .offset:         32
        .size:           8
        .value_kind:     global_buffer
      - .offset:         40
        .size:           8
        .value_kind:     by_value
      - .actual_access:  read_only
        .address_space:  global
        .offset:         48
        .size:           8
        .value_kind:     global_buffer
      - .actual_access:  read_only
        .address_space:  global
        .offset:         56
        .size:           8
        .value_kind:     global_buffer
      - .offset:         64
        .size:           4
        .value_kind:     by_value
      - .actual_access:  read_only
        .address_space:  global
        .offset:         72
        .size:           8
        .value_kind:     global_buffer
      - .actual_access:  read_only
        .address_space:  global
        .offset:         80
        .size:           8
        .value_kind:     global_buffer
      - .actual_access:  read_only
        .address_space:  global
        .offset:         88
        .size:           8
        .value_kind:     global_buffer
      - .actual_access:  write_only
        .address_space:  global
        .offset:         96
        .size:           8
        .value_kind:     global_buffer
    .group_segment_fixed_size: 0
    .kernarg_segment_align: 8
    .kernarg_segment_size: 104
    .language:       OpenCL C
    .language_version:
      - 2
      - 0
    .max_flat_workgroup_size: 119
    .name:           fft_rtc_fwd_len1666_factors_17_2_7_7_wgs_119_tpt_119_halfLds_sp_op_CI_CI_unitstride_sbrr_dirReg
    .private_segment_fixed_size: 0
    .sgpr_count:     32
    .sgpr_spill_count: 0
    .symbol:         fft_rtc_fwd_len1666_factors_17_2_7_7_wgs_119_tpt_119_halfLds_sp_op_CI_CI_unitstride_sbrr_dirReg.kd
    .uniform_work_group_size: 1
    .uses_dynamic_stack: false
    .vgpr_count:     77
    .vgpr_spill_count: 0
    .wavefront_size: 64
amdhsa.target:   amdgcn-amd-amdhsa--gfx906
amdhsa.version:
  - 1
  - 2
...

	.end_amdgpu_metadata
